;; amdgpu-corpus repo=ROCm/rocFFT kind=compiled arch=gfx906 opt=O3
	.text
	.amdgcn_target "amdgcn-amd-amdhsa--gfx906"
	.amdhsa_code_object_version 6
	.protected	fft_rtc_back_len594_factors_11_3_6_3_wgs_99_tpt_99_sp_ip_CI_unitstride_sbrr_dirReg ; -- Begin function fft_rtc_back_len594_factors_11_3_6_3_wgs_99_tpt_99_sp_ip_CI_unitstride_sbrr_dirReg
	.globl	fft_rtc_back_len594_factors_11_3_6_3_wgs_99_tpt_99_sp_ip_CI_unitstride_sbrr_dirReg
	.p2align	8
	.type	fft_rtc_back_len594_factors_11_3_6_3_wgs_99_tpt_99_sp_ip_CI_unitstride_sbrr_dirReg,@function
fft_rtc_back_len594_factors_11_3_6_3_wgs_99_tpt_99_sp_ip_CI_unitstride_sbrr_dirReg: ; @fft_rtc_back_len594_factors_11_3_6_3_wgs_99_tpt_99_sp_ip_CI_unitstride_sbrr_dirReg
; %bb.0:
	s_load_dwordx2 s[12:13], s[4:5], 0x50
	s_load_dwordx4 s[8:11], s[4:5], 0x0
	s_load_dwordx2 s[2:3], s[4:5], 0x18
	v_mul_u32_u24_e32 v1, 0x296, v0
	v_add_u32_sdwa v5, s6, v1 dst_sel:DWORD dst_unused:UNUSED_PAD src0_sel:DWORD src1_sel:WORD_1
	v_mov_b32_e32 v3, 0
	s_waitcnt lgkmcnt(0)
	v_cmp_lt_u64_e64 s[0:1], s[10:11], 2
	v_mov_b32_e32 v1, 0
	v_mov_b32_e32 v6, v3
	s_and_b64 vcc, exec, s[0:1]
	v_mov_b32_e32 v2, 0
	s_cbranch_vccnz .LBB0_8
; %bb.1:
	s_load_dwordx2 s[0:1], s[4:5], 0x10
	s_add_u32 s6, s2, 8
	s_addc_u32 s7, s3, 0
	v_mov_b32_e32 v1, 0
	v_mov_b32_e32 v2, 0
	s_waitcnt lgkmcnt(0)
	s_add_u32 s14, s0, 8
	s_addc_u32 s15, s1, 0
	s_mov_b64 s[16:17], 1
.LBB0_2:                                ; =>This Inner Loop Header: Depth=1
	s_load_dwordx2 s[18:19], s[14:15], 0x0
                                        ; implicit-def: $vgpr7_vgpr8
	s_waitcnt lgkmcnt(0)
	v_or_b32_e32 v4, s19, v6
	v_cmp_ne_u64_e32 vcc, 0, v[3:4]
	s_and_saveexec_b64 s[0:1], vcc
	s_xor_b64 s[20:21], exec, s[0:1]
	s_cbranch_execz .LBB0_4
; %bb.3:                                ;   in Loop: Header=BB0_2 Depth=1
	v_cvt_f32_u32_e32 v4, s18
	v_cvt_f32_u32_e32 v7, s19
	s_sub_u32 s0, 0, s18
	s_subb_u32 s1, 0, s19
	v_mac_f32_e32 v4, 0x4f800000, v7
	v_rcp_f32_e32 v4, v4
	v_mul_f32_e32 v4, 0x5f7ffffc, v4
	v_mul_f32_e32 v7, 0x2f800000, v4
	v_trunc_f32_e32 v7, v7
	v_mac_f32_e32 v4, 0xcf800000, v7
	v_cvt_u32_f32_e32 v7, v7
	v_cvt_u32_f32_e32 v4, v4
	v_mul_lo_u32 v8, s0, v7
	v_mul_hi_u32 v9, s0, v4
	v_mul_lo_u32 v11, s1, v4
	v_mul_lo_u32 v10, s0, v4
	v_add_u32_e32 v8, v9, v8
	v_add_u32_e32 v8, v8, v11
	v_mul_hi_u32 v9, v4, v10
	v_mul_lo_u32 v11, v4, v8
	v_mul_hi_u32 v13, v4, v8
	v_mul_hi_u32 v12, v7, v10
	v_mul_lo_u32 v10, v7, v10
	v_mul_hi_u32 v14, v7, v8
	v_add_co_u32_e32 v9, vcc, v9, v11
	v_addc_co_u32_e32 v11, vcc, 0, v13, vcc
	v_mul_lo_u32 v8, v7, v8
	v_add_co_u32_e32 v9, vcc, v9, v10
	v_addc_co_u32_e32 v9, vcc, v11, v12, vcc
	v_addc_co_u32_e32 v10, vcc, 0, v14, vcc
	v_add_co_u32_e32 v8, vcc, v9, v8
	v_addc_co_u32_e32 v9, vcc, 0, v10, vcc
	v_add_co_u32_e32 v4, vcc, v4, v8
	v_addc_co_u32_e32 v7, vcc, v7, v9, vcc
	v_mul_lo_u32 v8, s0, v7
	v_mul_hi_u32 v9, s0, v4
	v_mul_lo_u32 v10, s1, v4
	v_mul_lo_u32 v11, s0, v4
	v_add_u32_e32 v8, v9, v8
	v_add_u32_e32 v8, v8, v10
	v_mul_lo_u32 v12, v4, v8
	v_mul_hi_u32 v13, v4, v11
	v_mul_hi_u32 v14, v4, v8
	;; [unrolled: 1-line block ×3, first 2 shown]
	v_mul_lo_u32 v11, v7, v11
	v_mul_hi_u32 v9, v7, v8
	v_add_co_u32_e32 v12, vcc, v13, v12
	v_addc_co_u32_e32 v13, vcc, 0, v14, vcc
	v_mul_lo_u32 v8, v7, v8
	v_add_co_u32_e32 v11, vcc, v12, v11
	v_addc_co_u32_e32 v10, vcc, v13, v10, vcc
	v_addc_co_u32_e32 v9, vcc, 0, v9, vcc
	v_add_co_u32_e32 v8, vcc, v10, v8
	v_addc_co_u32_e32 v9, vcc, 0, v9, vcc
	v_add_co_u32_e32 v4, vcc, v4, v8
	v_addc_co_u32_e32 v9, vcc, v7, v9, vcc
	v_mad_u64_u32 v[7:8], s[0:1], v5, v9, 0
	v_mul_hi_u32 v10, v5, v4
	v_add_co_u32_e32 v11, vcc, v10, v7
	v_addc_co_u32_e32 v12, vcc, 0, v8, vcc
	v_mad_u64_u32 v[7:8], s[0:1], v6, v4, 0
	v_mad_u64_u32 v[9:10], s[0:1], v6, v9, 0
	v_add_co_u32_e32 v4, vcc, v11, v7
	v_addc_co_u32_e32 v4, vcc, v12, v8, vcc
	v_addc_co_u32_e32 v7, vcc, 0, v10, vcc
	v_add_co_u32_e32 v4, vcc, v4, v9
	v_addc_co_u32_e32 v9, vcc, 0, v7, vcc
	v_mul_lo_u32 v10, s19, v4
	v_mul_lo_u32 v11, s18, v9
	v_mad_u64_u32 v[7:8], s[0:1], s18, v4, 0
	v_add3_u32 v8, v8, v11, v10
	v_sub_u32_e32 v10, v6, v8
	v_mov_b32_e32 v11, s19
	v_sub_co_u32_e32 v7, vcc, v5, v7
	v_subb_co_u32_e64 v10, s[0:1], v10, v11, vcc
	v_subrev_co_u32_e64 v11, s[0:1], s18, v7
	v_subbrev_co_u32_e64 v10, s[0:1], 0, v10, s[0:1]
	v_cmp_le_u32_e64 s[0:1], s19, v10
	v_cndmask_b32_e64 v12, 0, -1, s[0:1]
	v_cmp_le_u32_e64 s[0:1], s18, v11
	v_cndmask_b32_e64 v11, 0, -1, s[0:1]
	v_cmp_eq_u32_e64 s[0:1], s19, v10
	v_cndmask_b32_e64 v10, v12, v11, s[0:1]
	v_add_co_u32_e64 v11, s[0:1], 2, v4
	v_addc_co_u32_e64 v12, s[0:1], 0, v9, s[0:1]
	v_add_co_u32_e64 v13, s[0:1], 1, v4
	v_addc_co_u32_e64 v14, s[0:1], 0, v9, s[0:1]
	v_subb_co_u32_e32 v8, vcc, v6, v8, vcc
	v_cmp_ne_u32_e64 s[0:1], 0, v10
	v_cmp_le_u32_e32 vcc, s19, v8
	v_cndmask_b32_e64 v10, v14, v12, s[0:1]
	v_cndmask_b32_e64 v12, 0, -1, vcc
	v_cmp_le_u32_e32 vcc, s18, v7
	v_cndmask_b32_e64 v7, 0, -1, vcc
	v_cmp_eq_u32_e32 vcc, s19, v8
	v_cndmask_b32_e32 v7, v12, v7, vcc
	v_cmp_ne_u32_e32 vcc, 0, v7
	v_cndmask_b32_e64 v7, v13, v11, s[0:1]
	v_cndmask_b32_e32 v8, v9, v10, vcc
	v_cndmask_b32_e32 v7, v4, v7, vcc
.LBB0_4:                                ;   in Loop: Header=BB0_2 Depth=1
	s_andn2_saveexec_b64 s[0:1], s[20:21]
	s_cbranch_execz .LBB0_6
; %bb.5:                                ;   in Loop: Header=BB0_2 Depth=1
	v_cvt_f32_u32_e32 v4, s18
	s_sub_i32 s20, 0, s18
	v_rcp_iflag_f32_e32 v4, v4
	v_mul_f32_e32 v4, 0x4f7ffffe, v4
	v_cvt_u32_f32_e32 v4, v4
	v_mul_lo_u32 v7, s20, v4
	v_mul_hi_u32 v7, v4, v7
	v_add_u32_e32 v4, v4, v7
	v_mul_hi_u32 v4, v5, v4
	v_mul_lo_u32 v7, v4, s18
	v_add_u32_e32 v8, 1, v4
	v_sub_u32_e32 v7, v5, v7
	v_subrev_u32_e32 v9, s18, v7
	v_cmp_le_u32_e32 vcc, s18, v7
	v_cndmask_b32_e32 v7, v7, v9, vcc
	v_cndmask_b32_e32 v4, v4, v8, vcc
	v_add_u32_e32 v8, 1, v4
	v_cmp_le_u32_e32 vcc, s18, v7
	v_cndmask_b32_e32 v7, v4, v8, vcc
	v_mov_b32_e32 v8, v3
.LBB0_6:                                ;   in Loop: Header=BB0_2 Depth=1
	s_or_b64 exec, exec, s[0:1]
	v_mul_lo_u32 v4, v8, s18
	v_mul_lo_u32 v11, v7, s19
	v_mad_u64_u32 v[9:10], s[0:1], v7, s18, 0
	s_load_dwordx2 s[0:1], s[6:7], 0x0
	s_add_u32 s16, s16, 1
	v_add3_u32 v4, v10, v11, v4
	v_sub_co_u32_e32 v5, vcc, v5, v9
	v_subb_co_u32_e32 v4, vcc, v6, v4, vcc
	s_waitcnt lgkmcnt(0)
	v_mul_lo_u32 v4, s0, v4
	v_mul_lo_u32 v6, s1, v5
	v_mad_u64_u32 v[1:2], s[0:1], s0, v5, v[1:2]
	s_addc_u32 s17, s17, 0
	s_add_u32 s6, s6, 8
	v_add3_u32 v2, v6, v2, v4
	v_mov_b32_e32 v4, s10
	v_mov_b32_e32 v5, s11
	s_addc_u32 s7, s7, 0
	v_cmp_ge_u64_e32 vcc, s[16:17], v[4:5]
	s_add_u32 s14, s14, 8
	s_addc_u32 s15, s15, 0
	s_cbranch_vccnz .LBB0_9
; %bb.7:                                ;   in Loop: Header=BB0_2 Depth=1
	v_mov_b32_e32 v5, v7
	v_mov_b32_e32 v6, v8
	s_branch .LBB0_2
.LBB0_8:
	v_mov_b32_e32 v8, v6
	v_mov_b32_e32 v7, v5
.LBB0_9:
	s_lshl_b64 s[0:1], s[10:11], 3
	s_add_u32 s0, s2, s0
	s_addc_u32 s1, s3, s1
	s_load_dwordx2 s[2:3], s[0:1], 0x0
	s_load_dwordx2 s[6:7], s[4:5], 0x20
                                        ; implicit-def: $vgpr9
                                        ; implicit-def: $vgpr11
                                        ; implicit-def: $vgpr13
                                        ; implicit-def: $vgpr17
                                        ; implicit-def: $vgpr15
                                        ; implicit-def: $vgpr19
                                        ; implicit-def: $vgpr23
                                        ; implicit-def: $vgpr21
                                        ; implicit-def: $vgpr25
	s_waitcnt lgkmcnt(0)
	v_mad_u64_u32 v[1:2], s[0:1], s2, v7, v[1:2]
	s_mov_b32 s0, 0x295fad5
	v_mul_lo_u32 v3, s2, v8
	v_mul_lo_u32 v4, s3, v7
	v_mul_hi_u32 v5, v0, s0
	v_cmp_gt_u64_e64 s[0:1], s[6:7], v[7:8]
                                        ; implicit-def: $vgpr7
	v_add3_u32 v2, v4, v2, v3
	v_mul_u32_u24_e32 v3, 0x63, v5
	v_sub_u32_e32 v0, v0, v3
	v_cmp_gt_u32_e64 s[2:3], 54, v0
	v_lshlrev_b64 v[2:3], 3, v[1:2]
	s_and_b64 s[6:7], s[0:1], s[2:3]
	v_mov_b32_e32 v5, 0
	v_mov_b32_e32 v4, 0
	s_and_saveexec_b64 s[4:5], s[6:7]
	s_cbranch_execz .LBB0_11
; %bb.10:
	v_mov_b32_e32 v1, 0
	v_mov_b32_e32 v4, s13
	v_add_co_u32_e32 v6, vcc, s12, v2
	v_addc_co_u32_e32 v7, vcc, v4, v3, vcc
	v_lshlrev_b64 v[4:5], 3, v[0:1]
	v_add_co_u32_e32 v26, vcc, v6, v4
	v_addc_co_u32_e32 v27, vcc, v7, v5, vcc
	global_load_dwordx2 v[4:5], v[26:27], off
	global_load_dwordx2 v[6:7], v[26:27], off offset:432
	global_load_dwordx2 v[8:9], v[26:27], off offset:864
	;; [unrolled: 1-line block ×7, first 2 shown]
	v_add_co_u32_e32 v28, vcc, 0x1000, v26
	v_addc_co_u32_e32 v29, vcc, 0, v27, vcc
	global_load_dwordx2 v[22:23], v[26:27], off offset:3456
	global_load_dwordx2 v[18:19], v[26:27], off offset:3888
	global_load_dwordx2 v[14:15], v[28:29], off offset:224
.LBB0_11:
	s_or_b64 exec, exec, s[4:5]
	s_and_saveexec_b64 s[4:5], s[2:3]
	s_cbranch_execz .LBB0_13
; %bb.12:
	s_waitcnt vmcnt(9)
	v_add_f32_e32 v28, v4, v6
	v_add_f32_e32 v27, v5, v7
	s_waitcnt vmcnt(8)
	v_add_f32_e32 v28, v28, v8
	v_add_f32_e32 v27, v27, v9
	;; [unrolled: 3-line block ×4, first 2 shown]
	s_waitcnt vmcnt(5)
	v_add_f32_e32 v28, v28, v16
	s_waitcnt vmcnt(4)
	v_sub_f32_e32 v26, v16, v24
	v_add_f32_e32 v27, v27, v17
	v_add_f32_e32 v29, v16, v24
	;; [unrolled: 1-line block ×4, first 2 shown]
	v_sub_f32_e32 v16, v17, v25
	v_add_f32_e32 v17, v27, v25
	s_waitcnt vmcnt(3)
	v_add_f32_e32 v27, v13, v21
	v_sub_f32_e32 v30, v13, v21
	v_add_f32_e32 v13, v20, v24
	v_sub_f32_e32 v25, v12, v20
	v_add_f32_e32 v28, v12, v20
	v_add_f32_e32 v12, v21, v17
	s_waitcnt vmcnt(2)
	v_add_f32_e32 v31, v11, v23
	v_sub_f32_e32 v20, v11, v23
	v_add_f32_e32 v11, v22, v13
	v_sub_f32_e32 v17, v10, v22
	v_add_f32_e32 v32, v10, v22
	;; [unrolled: 7-line block ×3, first 2 shown]
	s_waitcnt vmcnt(0)
	v_sub_f32_e32 v18, v6, v14
	v_add_f32_e32 v8, v19, v10
	v_add_f32_e32 v35, v7, v15
	v_mul_f32_e32 v23, 0xbe903f40, v18
	s_mov_b32 s2, 0xbf75a155
	v_sub_f32_e32 v19, v7, v15
	v_add_f32_e32 v7, v15, v8
	v_fma_f32 v8, v35, s2, -v23
	s_mov_b32 s7, 0x3f575c64
	v_mul_f32_e32 v24, 0x3f0a6770, v21
	v_add_f32_e32 v36, v6, v14
	v_add_f32_e32 v6, v14, v9
	;; [unrolled: 1-line block ×3, first 2 shown]
	v_fma_f32 v9, v33, s7, -v24
	s_mov_b32 s3, 0xbf27a4f4
	v_mul_f32_e32 v37, 0xbf4178ce, v17
	v_add_f32_e32 v8, v8, v9
	v_fma_f32 v9, v31, s3, -v37
	s_mov_b32 s6, 0x3ed4b147
	v_mul_f32_e32 v38, 0x3f68dda4, v25
	v_add_f32_e32 v8, v8, v9
	v_fma_f32 v9, v27, s6, -v38
	v_mul_f32_e32 v39, 0xbe903f40, v19
	v_add_f32_e32 v8, v8, v9
	v_mov_b32_e32 v9, v39
	v_mul_f32_e32 v40, 0x3f0a6770, v22
	v_fmac_f32_e32 v9, 0xbf75a155, v36
	v_mov_b32_e32 v10, v40
	v_add_f32_e32 v9, v4, v9
	v_fmac_f32_e32 v10, 0x3f575c64, v34
	v_mul_f32_e32 v41, 0xbf4178ce, v20
	v_add_f32_e32 v9, v9, v10
	v_mov_b32_e32 v10, v41
	v_fmac_f32_e32 v10, 0xbf27a4f4, v32
	v_mul_f32_e32 v42, 0x3f68dda4, v30
	v_add_f32_e32 v9, v9, v10
	v_mov_b32_e32 v10, v42
	v_fmac_f32_e32 v10, 0x3ed4b147, v28
	s_mov_b32 s10, 0xbe11bafb
	v_mul_f32_e32 v43, 0xbf7d64f0, v26
	v_add_f32_e32 v10, v9, v10
	v_fma_f32 v9, v1, s10, -v43
	v_mul_f32_e32 v44, 0xbf7d64f0, v16
	v_add_f32_e32 v9, v8, v9
	v_mov_b32_e32 v8, v44
	v_fmac_f32_e32 v8, 0xbe11bafb, v29
	v_mul_f32_e32 v45, 0xbf4178ce, v18
	v_add_f32_e32 v8, v10, v8
	v_fma_f32 v10, v35, s3, -v45
	v_mul_f32_e32 v46, 0x3f7d64f0, v21
	v_add_f32_e32 v10, v5, v10
	v_fma_f32 v11, v33, s10, -v46
	;; [unrolled: 3-line block ×4, first 2 shown]
	v_mul_f32_e32 v49, 0xbf4178ce, v19
	v_add_f32_e32 v10, v10, v11
	v_mov_b32_e32 v11, v49
	v_mul_f32_e32 v50, 0x3f7d64f0, v22
	v_fmac_f32_e32 v11, 0xbf27a4f4, v36
	v_mov_b32_e32 v12, v50
	v_add_f32_e32 v11, v4, v11
	v_fmac_f32_e32 v12, 0xbe11bafb, v34
	v_mul_f32_e32 v51, 0xbf0a6770, v20
	v_add_f32_e32 v11, v11, v12
	v_mov_b32_e32 v12, v51
	v_fmac_f32_e32 v12, 0x3f575c64, v32
	v_mul_f32_e32 v52, 0xbe903f40, v30
	v_add_f32_e32 v11, v11, v12
	v_mov_b32_e32 v12, v52
	v_fmac_f32_e32 v12, 0xbf75a155, v28
	v_mul_f32_e32 v53, 0x3f68dda4, v26
	v_add_f32_e32 v12, v11, v12
	v_fma_f32 v11, v1, s6, -v53
	v_mul_f32_e32 v54, 0x3f68dda4, v16
	v_add_f32_e32 v11, v10, v11
	v_mov_b32_e32 v10, v54
	v_fmac_f32_e32 v10, 0x3ed4b147, v29
	v_mul_f32_e32 v55, 0xbf7d64f0, v18
	v_add_f32_e32 v10, v12, v10
	v_fma_f32 v12, v35, s10, -v55
	v_mul_f32_e32 v56, 0x3e903f40, v21
	v_add_f32_e32 v12, v5, v12
	v_fma_f32 v13, v33, s2, -v56
	;; [unrolled: 3-line block ×4, first 2 shown]
	v_mul_f32_e32 v59, 0xbf7d64f0, v19
	v_add_f32_e32 v12, v12, v13
	v_mov_b32_e32 v13, v59
	v_mul_f32_e32 v60, 0x3e903f40, v22
	v_fmac_f32_e32 v13, 0xbe11bafb, v36
	v_mov_b32_e32 v14, v60
	v_add_f32_e32 v13, v4, v13
	v_fmac_f32_e32 v14, 0xbf75a155, v34
	v_mul_f32_e32 v61, 0x3f68dda4, v20
	v_add_f32_e32 v13, v13, v14
	v_mov_b32_e32 v14, v61
	v_fmac_f32_e32 v14, 0x3ed4b147, v32
	v_mul_f32_e32 v62, 0xbf0a6770, v30
	v_add_f32_e32 v13, v13, v14
	v_mov_b32_e32 v14, v62
	v_fmac_f32_e32 v14, 0x3f575c64, v28
	v_mul_f32_e32 v63, 0xbf4178ce, v26
	v_add_f32_e32 v14, v13, v14
	v_fma_f32 v13, v1, s3, -v63
	v_mul_f32_e32 v64, 0xbf4178ce, v16
	v_add_f32_e32 v13, v12, v13
	v_mov_b32_e32 v12, v64
	v_fmac_f32_e32 v12, 0xbf27a4f4, v29
	v_mul_f32_e32 v65, 0xbf68dda4, v18
	v_add_f32_e32 v12, v14, v12
	v_fma_f32 v14, v35, s6, -v65
	v_mul_f32_e32 v66, 0xbf4178ce, v21
	v_add_f32_e32 v14, v5, v14
	v_fma_f32 v15, v33, s3, -v66
	;; [unrolled: 3-line block ×4, first 2 shown]
	v_mul_f32_e32 v69, 0xbf68dda4, v19
	v_add_f32_e32 v14, v14, v15
	v_mov_b32_e32 v15, v69
	v_mul_f32_e32 v70, 0xbf4178ce, v22
	v_fmac_f32_e32 v15, 0x3ed4b147, v36
	v_mov_b32_e32 v71, v70
	v_add_f32_e32 v15, v4, v15
	v_fmac_f32_e32 v71, 0xbf27a4f4, v34
	v_add_f32_e32 v15, v15, v71
	v_mul_f32_e32 v71, 0x3e903f40, v20
	v_mov_b32_e32 v72, v71
	v_fmac_f32_e32 v72, 0xbf75a155, v32
	v_add_f32_e32 v15, v15, v72
	v_mul_f32_e32 v72, 0x3f7d64f0, v30
	v_mov_b32_e32 v73, v72
	v_fmac_f32_e32 v73, 0xbe11bafb, v28
	v_mul_f32_e32 v74, 0x3f0a6770, v26
	v_add_f32_e32 v73, v15, v73
	v_fma_f32 v15, v1, s7, -v74
	v_mul_f32_e32 v75, 0x3f0a6770, v16
	v_add_f32_e32 v15, v14, v15
	v_mov_b32_e32 v14, v75
	v_fmac_f32_e32 v14, 0x3f575c64, v29
	v_add_f32_e32 v14, v73, v14
	v_mul_f32_e32 v73, 0xbf0a6770, v18
	v_fma_f32 v18, v35, s7, -v73
	v_mul_f32_e32 v76, 0xbf68dda4, v21
	v_add_f32_e32 v18, v5, v18
	v_fma_f32 v21, v33, s6, -v76
	v_mul_f32_e32 v77, 0xbf7d64f0, v17
	v_add_f32_e32 v18, v18, v21
	;; [unrolled: 3-line block ×4, first 2 shown]
	v_mov_b32_e32 v18, v79
	v_mul_f32_e32 v80, 0xbf68dda4, v22
	v_fmac_f32_e32 v18, 0x3f575c64, v36
	v_mov_b32_e32 v19, v80
	v_add_f32_e32 v18, v4, v18
	v_fmac_f32_e32 v19, 0x3ed4b147, v34
	v_mul_f32_e32 v81, 0xbf7d64f0, v20
	v_add_f32_e32 v18, v18, v19
	v_mov_b32_e32 v19, v81
	v_fmac_f32_e32 v19, 0xbe11bafb, v32
	v_mul_f32_e32 v30, 0xbf4178ce, v30
	v_add_f32_e32 v18, v18, v19
	v_mov_b32_e32 v19, v30
	v_mul_f32_e32 v82, 0xbe903f40, v16
	v_fmac_f32_e32 v19, 0xbf27a4f4, v28
	v_mul_f32_e32 v26, 0xbe903f40, v26
	v_mov_b32_e32 v16, v82
	v_add_f32_e32 v18, v18, v19
	v_fma_f32 v19, v1, s2, -v26
	v_fmac_f32_e32 v16, 0xbf75a155, v29
	v_fmac_f32_e32 v23, 0xbf75a155, v35
	v_add_f32_e32 v17, v17, v19
	v_add_f32_e32 v16, v18, v16
	;; [unrolled: 1-line block ×3, first 2 shown]
	v_fmac_f32_e32 v24, 0x3f575c64, v33
	v_fma_f32 v19, v36, s2, -v39
	v_add_f32_e32 v18, v18, v24
	v_fmac_f32_e32 v37, 0xbf27a4f4, v31
	v_add_f32_e32 v19, v4, v19
	v_fma_f32 v20, v34, s7, -v40
	v_add_f32_e32 v18, v18, v37
	v_fmac_f32_e32 v38, 0x3ed4b147, v27
	v_add_f32_e32 v19, v19, v20
	v_fma_f32 v20, v32, s3, -v41
	v_add_f32_e32 v18, v18, v38
	v_add_f32_e32 v19, v19, v20
	v_fma_f32 v20, v28, s6, -v42
	v_fmac_f32_e32 v43, 0xbe11bafb, v1
	v_add_f32_e32 v20, v19, v20
	v_add_f32_e32 v19, v18, v43
	v_fma_f32 v18, v29, s10, -v44
	v_fmac_f32_e32 v45, 0xbf27a4f4, v35
	v_add_f32_e32 v18, v20, v18
	v_add_f32_e32 v20, v5, v45
	v_fmac_f32_e32 v46, 0xbe11bafb, v33
	v_fma_f32 v21, v36, s3, -v49
	v_add_f32_e32 v20, v20, v46
	v_fmac_f32_e32 v47, 0x3f575c64, v31
	v_add_f32_e32 v21, v4, v21
	v_fma_f32 v22, v34, s10, -v50
	v_add_f32_e32 v20, v20, v47
	v_fmac_f32_e32 v48, 0xbf75a155, v27
	v_add_f32_e32 v21, v21, v22
	v_fma_f32 v22, v32, s7, -v51
	v_add_f32_e32 v20, v20, v48
	v_add_f32_e32 v21, v21, v22
	v_fma_f32 v22, v28, s2, -v52
	v_fmac_f32_e32 v53, 0x3ed4b147, v1
	v_add_f32_e32 v22, v21, v22
	v_add_f32_e32 v21, v20, v53
	v_fma_f32 v20, v29, s6, -v54
	v_fmac_f32_e32 v55, 0xbe11bafb, v35
	v_add_f32_e32 v20, v22, v20
	v_add_f32_e32 v22, v5, v55
	v_fmac_f32_e32 v56, 0xbf75a155, v33
	v_fma_f32 v23, v36, s10, -v59
	v_add_f32_e32 v22, v22, v56
	v_fmac_f32_e32 v57, 0x3ed4b147, v31
	v_add_f32_e32 v23, v4, v23
	v_fma_f32 v24, v34, s2, -v60
	v_add_f32_e32 v22, v22, v57
	v_fmac_f32_e32 v58, 0x3f575c64, v27
	v_add_f32_e32 v23, v23, v24
	v_fma_f32 v24, v32, s6, -v61
	v_add_f32_e32 v22, v22, v58
	v_add_f32_e32 v23, v23, v24
	v_fma_f32 v24, v28, s7, -v62
	v_fmac_f32_e32 v63, 0xbf27a4f4, v1
	v_add_f32_e32 v24, v23, v24
	v_add_f32_e32 v23, v22, v63
	v_fma_f32 v22, v29, s3, -v64
	v_fmac_f32_e32 v65, 0x3ed4b147, v35
	v_fma_f32 v25, v36, s6, -v69
	v_fmac_f32_e32 v73, 0x3f575c64, v35
	v_fma_f32 v35, v36, s7, -v79
	v_add_f32_e32 v22, v24, v22
	v_add_f32_e32 v24, v5, v65
	v_fmac_f32_e32 v66, 0xbf27a4f4, v33
	v_add_f32_e32 v25, v4, v25
	v_fmac_f32_e32 v74, 0x3f575c64, v1
	v_add_f32_e32 v4, v4, v35
	v_fmac_f32_e32 v26, 0xbf75a155, v1
	v_fma_f32 v1, v34, s6, -v80
	v_add_f32_e32 v24, v24, v66
	v_fmac_f32_e32 v67, 0xbf75a155, v31
	v_fma_f32 v37, v34, s3, -v70
	v_add_f32_e32 v5, v5, v73
	v_fmac_f32_e32 v76, 0x3ed4b147, v33
	v_add_f32_e32 v1, v4, v1
	v_fma_f32 v4, v32, s10, -v81
	v_add_f32_e32 v24, v24, v67
	v_fmac_f32_e32 v68, 0xbe11bafb, v27
	v_add_f32_e32 v25, v25, v37
	;; [unrolled: 4-line block ×3, first 2 shown]
	v_fma_f32 v4, v28, s3, -v30
	v_add_f32_e32 v24, v24, v68
	v_add_f32_e32 v25, v25, v37
	v_fma_f32 v37, v28, s10, -v72
	v_add_f32_e32 v5, v5, v77
	v_fmac_f32_e32 v78, 0xbf27a4f4, v27
	v_add_f32_e32 v1, v1, v4
	v_fma_f32 v4, v29, s2, -v82
	s_movk_i32 s2, 0x58
	v_add_f32_e32 v37, v25, v37
	v_add_f32_e32 v25, v24, v74
	v_fma_f32 v24, v29, s7, -v75
	v_add_f32_e32 v5, v5, v78
	v_add_f32_e32 v4, v1, v4
	v_mad_u32_u24 v1, v0, s2, 0
	v_add_f32_e32 v24, v37, v24
	v_add_f32_e32 v5, v5, v26
	ds_write2_b64 v1, v[6:7], v[16:17] offset1:1
	ds_write2_b64 v1, v[14:15], v[12:13] offset0:2 offset1:3
	ds_write2_b64 v1, v[10:11], v[8:9] offset0:4 offset1:5
	ds_write2_b64 v1, v[18:19], v[20:21] offset0:6 offset1:7
	ds_write2_b64 v1, v[22:23], v[24:25] offset0:8 offset1:9
	ds_write_b64 v1, v[4:5] offset:80
.LBB0_13:
	s_or_b64 exec, exec, s[4:5]
	s_movk_i32 s2, 0x75
	v_mul_lo_u16_sdwa v1, v0, s2 dst_sel:DWORD dst_unused:UNUSED_PAD src0_sel:BYTE_0 src1_sel:DWORD
	s_waitcnt vmcnt(10)
	v_sub_u16_sdwa v5, v0, v1 dst_sel:DWORD dst_unused:UNUSED_PAD src0_sel:DWORD src1_sel:BYTE_1
	v_add_u32_e32 v4, 0x63, v0
	v_lshrrev_b16_e32 v5, 1, v5
	v_and_b32_e32 v5, 0x7f, v5
	s_waitcnt vmcnt(9)
	v_mul_lo_u16_sdwa v6, v4, s2 dst_sel:DWORD dst_unused:UNUSED_PAD src0_sel:BYTE_0 src1_sel:DWORD
	v_add_u16_sdwa v1, v5, v1 dst_sel:DWORD dst_unused:UNUSED_PAD src0_sel:DWORD src1_sel:BYTE_1
	v_sub_u16_sdwa v7, v4, v6 dst_sel:DWORD dst_unused:UNUSED_PAD src0_sel:DWORD src1_sel:BYTE_1
	v_lshrrev_b16_e32 v26, 3, v1
	v_lshrrev_b16_e32 v7, 1, v7
	v_mul_lo_u16_e32 v1, 11, v26
	v_and_b32_e32 v7, 0x7f, v7
	v_sub_u16_e32 v27, v0, v1
	v_mov_b32_e32 v1, 4
	v_add_u16_sdwa v6, v7, v6 dst_sel:DWORD dst_unused:UNUSED_PAD src0_sel:DWORD src1_sel:BYTE_1
	v_lshlrev_b32_sdwa v5, v1, v27 dst_sel:DWORD dst_unused:UNUSED_PAD src0_sel:DWORD src1_sel:BYTE_0
	v_lshrrev_b16_e32 v28, 3, v6
	s_waitcnt vmcnt(0) lgkmcnt(0)
	s_barrier
	global_load_dwordx4 v[6:9], v5, s[8:9]
	v_mul_lo_u16_e32 v5, 11, v28
	v_sub_u16_e32 v29, v4, v5
	v_lshlrev_b32_sdwa v1, v1, v29 dst_sel:DWORD dst_unused:UNUSED_PAD src0_sel:DWORD src1_sel:BYTE_0
	global_load_dwordx4 v[10:13], v1, s[8:9]
	v_lshl_add_u32 v1, v0, 3, 0
	ds_read2_b64 v[14:17], v1 offset0:99 offset1:198
	v_add_u32_e32 v5, 0x800, v1
	ds_read2_b32 v[22:23], v1 offset1:1
	ds_read_b64 v[24:25], v1 offset:3960
	ds_read2_b64 v[18:21], v5 offset0:41 offset1:140
	v_mov_b32_e32 v30, 3
	v_mul_u32_u24_e32 v26, 0x108, v26
	v_mul_u32_u24_e32 v28, 0x108, v28
	v_lshlrev_b32_sdwa v27, v30, v27 dst_sel:DWORD dst_unused:UNUSED_PAD src0_sel:DWORD src1_sel:BYTE_0
	v_lshlrev_b32_sdwa v29, v30, v29 dst_sel:DWORD dst_unused:UNUSED_PAD src0_sel:DWORD src1_sel:BYTE_0
	v_add3_u32 v26, 0, v26, v27
	v_add3_u32 v27, 0, v28, v29
	s_movk_i32 s2, 0xf9
	s_waitcnt vmcnt(0) lgkmcnt(0)
	s_barrier
	v_mul_f32_e32 v28, v7, v17
	v_mul_f32_e32 v7, v7, v16
	;; [unrolled: 1-line block ×8, first 2 shown]
	v_fmac_f32_e32 v28, v6, v16
	v_fma_f32 v6, v6, v17, -v7
	v_fmac_f32_e32 v29, v8, v20
	v_fma_f32 v7, v8, v21, -v9
	;; [unrolled: 2-line block ×4, first 2 shown]
	v_add_f32_e32 v11, v28, v29
	v_add_f32_e32 v13, v6, v7
	;; [unrolled: 1-line block ×5, first 2 shown]
	v_sub_f32_e32 v16, v6, v7
	v_add_f32_e32 v12, v23, v6
	v_sub_f32_e32 v17, v28, v29
	v_add_f32_e32 v18, v14, v31
	v_add_f32_e32 v21, v15, v8
	v_fma_f32 v22, -0.5, v11, v22
	v_fmac_f32_e32 v23, -0.5, v13
	v_fma_f32 v14, -0.5, v19, v14
	v_fmac_f32_e32 v15, -0.5, v24
	v_sub_f32_e32 v20, v8, v9
	v_sub_f32_e32 v25, v31, v32
	v_add_f32_e32 v6, v10, v29
	v_add_f32_e32 v7, v12, v7
	v_mov_b32_e32 v10, v22
	v_fmac_f32_e32 v22, 0x3f5db3d7, v16
	v_mov_b32_e32 v11, v23
	v_fmac_f32_e32 v23, 0xbf5db3d7, v17
	v_mov_b32_e32 v12, v14
	v_mov_b32_e32 v13, v15
	v_add_f32_e32 v8, v18, v32
	v_add_f32_e32 v9, v21, v9
	v_fmac_f32_e32 v14, 0x3f5db3d7, v20
	v_fmac_f32_e32 v15, 0xbf5db3d7, v25
	;; [unrolled: 1-line block ×6, first 2 shown]
	ds_write_b64 v26, v[22:23] offset:176
	ds_write2_b64 v26, v[6:7], v[10:11] offset1:11
	ds_write2_b64 v27, v[8:9], v[12:13] offset1:11
	ds_write_b64 v27, v[14:15] offset:176
	v_mul_lo_u16_sdwa v6, v0, s2 dst_sel:DWORD dst_unused:UNUSED_PAD src0_sel:BYTE_0 src1_sel:DWORD
	v_lshrrev_b16_e32 v29, 13, v6
	v_mul_lo_u16_e32 v6, 33, v29
	v_sub_u16_e32 v31, v0, v6
	v_mov_b32_e32 v6, 5
	v_mul_u32_u24_sdwa v6, v31, v6 dst_sel:DWORD dst_unused:UNUSED_PAD src0_sel:BYTE_0 src1_sel:DWORD
	v_lshlrev_b32_e32 v6, 3, v6
	s_waitcnt lgkmcnt(0)
	s_barrier
	global_load_dwordx4 v[7:10], v6, s[8:9] offset:176
	global_load_dwordx4 v[11:14], v6, s[8:9] offset:192
	global_load_dwordx2 v[27:28], v6, s[8:9] offset:208
	v_add_u32_e32 v6, 0x400, v1
	ds_read2_b64 v[15:18], v1 offset1:99
	ds_read2_b64 v[19:22], v6 offset0:70 offset1:169
	ds_read2_b64 v[23:26], v5 offset0:140 offset1:239
	s_waitcnt vmcnt(0) lgkmcnt(0)
	s_barrier
	v_mul_f32_e32 v32, v8, v18
	v_mul_f32_e32 v8, v8, v17
	;; [unrolled: 1-line block ×10, first 2 shown]
	v_fmac_f32_e32 v32, v7, v17
	v_fma_f32 v17, v7, v18, -v8
	v_fma_f32 v7, v9, v20, -v10
	;; [unrolled: 1-line block ×4, first 2 shown]
	v_fmac_f32_e32 v33, v9, v19
	v_fmac_f32_e32 v34, v11, v21
	v_fmac_f32_e32 v35, v13, v23
	v_fma_f32 v9, v13, v24, -v14
	v_fmac_f32_e32 v36, v27, v25
	v_sub_f32_e32 v21, v8, v10
	v_add_f32_e32 v22, v17, v8
	v_add_f32_e32 v8, v8, v10
	;; [unrolled: 1-line block ×3, first 2 shown]
	v_sub_f32_e32 v13, v7, v9
	v_add_f32_e32 v14, v16, v7
	v_add_f32_e32 v7, v7, v9
	;; [unrolled: 1-line block ×3, first 2 shown]
	v_fmac_f32_e32 v17, -0.5, v8
	v_add_f32_e32 v11, v15, v33
	v_add_f32_e32 v19, v32, v34
	v_sub_f32_e32 v23, v34, v36
	v_fma_f32 v15, -0.5, v12, v15
	v_add_f32_e32 v12, v14, v9
	v_fma_f32 v14, -0.5, v7, v16
	v_fmac_f32_e32 v32, -0.5, v20
	v_add_f32_e32 v10, v22, v10
	v_mov_b32_e32 v22, v17
	v_sub_f32_e32 v18, v33, v35
	v_add_f32_e32 v9, v19, v36
	v_mov_b32_e32 v19, v15
	v_mov_b32_e32 v20, v14
	;; [unrolled: 1-line block ×3, first 2 shown]
	v_fmac_f32_e32 v17, 0xbf5db3d7, v23
	v_fmac_f32_e32 v22, 0x3f5db3d7, v23
	;; [unrolled: 1-line block ×8, first 2 shown]
	v_mul_f32_e32 v13, 0xbf5db3d7, v17
	v_mul_f32_e32 v17, -0.5, v17
	v_mul_f32_e32 v18, 0xbf5db3d7, v22
	v_mul_f32_e32 v21, 0.5, v22
	v_add_f32_e32 v11, v11, v35
	v_fmac_f32_e32 v13, -0.5, v32
	v_fmac_f32_e32 v17, 0x3f5db3d7, v32
	v_fmac_f32_e32 v18, 0.5, v16
	v_fmac_f32_e32 v21, 0x3f5db3d7, v16
	v_add_f32_e32 v7, v11, v9
	v_add_f32_e32 v8, v12, v10
	v_sub_f32_e32 v9, v11, v9
	v_sub_f32_e32 v10, v12, v10
	v_add_f32_e32 v11, v15, v13
	v_add_f32_e32 v12, v14, v17
	v_sub_f32_e32 v13, v15, v13
	v_sub_f32_e32 v14, v14, v17
	;; [unrolled: 4-line block ×3, first 2 shown]
	v_mul_u32_u24_e32 v19, 0x630, v29
	v_lshlrev_b32_sdwa v20, v30, v31 dst_sel:DWORD dst_unused:UNUSED_PAD src0_sel:DWORD src1_sel:BYTE_0
	v_add3_u32 v19, 0, v19, v20
	ds_write2_b64 v19, v[7:8], v[15:16] offset1:33
	ds_write2_b64 v19, v[11:12], v[9:10] offset0:66 offset1:99
	ds_write2_b64 v19, v[17:18], v[13:14] offset0:132 offset1:165
	s_waitcnt lgkmcnt(0)
	s_barrier
	s_and_saveexec_b64 s[2:3], s[0:1]
	s_cbranch_execz .LBB0_15
; %bb.14:
	v_lshlrev_b32_e32 v27, 1, v4
	v_mov_b32_e32 v28, 0
	v_lshlrev_b64 v[7:8], 3, v[27:28]
	v_lshlrev_b32_e32 v27, 1, v0
	v_mov_b32_e32 v13, s9
	v_add_co_u32_e32 v7, vcc, s8, v7
	v_lshlrev_b64 v[11:12], 3, v[27:28]
	v_addc_co_u32_e32 v8, vcc, v13, v8, vcc
	v_add_co_u32_e32 v11, vcc, s8, v11
	global_load_dwordx4 v[7:10], v[7:8], off offset:1496
	v_addc_co_u32_e32 v12, vcc, v13, v12, vcc
	global_load_dwordx4 v[11:14], v[11:12], off offset:1496
	ds_read2_b64 v[15:18], v1 offset1:99
	ds_read2_b64 v[19:22], v6 offset0:70 offset1:169
	ds_read2_b64 v[23:26], v5 offset0:140 offset1:239
	s_mov_b32 s0, 0xa57eb503
	v_mul_hi_u32 v4, v4, s0
	v_mov_b32_e32 v1, v28
	v_mov_b32_e32 v5, s13
	v_add_co_u32_e32 v2, vcc, s12, v2
	v_lshlrev_b64 v[0:1], 3, v[0:1]
	v_addc_co_u32_e32 v3, vcc, v5, v3, vcc
	v_add_co_u32_e32 v0, vcc, v2, v0
	v_lshrrev_b32_e32 v2, 7, v4
	v_mul_u32_u24_e32 v27, 0x18c, v2
	v_addc_co_u32_e32 v1, vcc, v3, v1, vcc
	v_lshlrev_b64 v[2:3], 3, v[27:28]
	v_add_co_u32_e32 v2, vcc, v0, v2
	v_addc_co_u32_e32 v3, vcc, v1, v3, vcc
	s_waitcnt vmcnt(1) lgkmcnt(1)
	v_mul_f32_e32 v4, v8, v21
	s_waitcnt lgkmcnt(0)
	v_mul_f32_e32 v5, v10, v25
	v_mul_f32_e32 v6, v8, v22
	;; [unrolled: 1-line block ×3, first 2 shown]
	v_fma_f32 v4, v7, v22, -v4
	v_fma_f32 v10, v9, v26, -v5
	v_fmac_f32_e32 v6, v7, v21
	v_fmac_f32_e32 v8, v9, v25
	s_waitcnt vmcnt(0)
	v_mul_f32_e32 v5, v12, v19
	v_mul_f32_e32 v7, v14, v23
	;; [unrolled: 1-line block ×4, first 2 shown]
	v_add_f32_e32 v26, v18, v4
	v_fma_f32 v20, v11, v20, -v5
	v_fma_f32 v24, v13, v24, -v7
	v_fmac_f32_e32 v9, v11, v19
	v_fmac_f32_e32 v12, v13, v23
	v_add_f32_e32 v14, v4, v10
	v_add_f32_e32 v22, v6, v8
	v_sub_f32_e32 v25, v4, v10
	v_add_f32_e32 v7, v26, v10
	v_add_f32_e32 v10, v20, v24
	;; [unrolled: 1-line block ×3, first 2 shown]
	v_sub_f32_e32 v21, v6, v8
	v_add_f32_e32 v6, v17, v6
	v_fma_f32 v5, -0.5, v14, v18
	v_fma_f32 v4, -0.5, v22, v17
	v_sub_f32_e32 v17, v9, v12
	v_sub_f32_e32 v18, v20, v24
	v_add_f32_e32 v14, v20, v16
	v_add_f32_e32 v19, v9, v15
	v_fma_f32 v11, -0.5, v10, v16
	v_fma_f32 v10, -0.5, v13, v15
	v_add_f32_e32 v6, v6, v8
	v_mov_b32_e32 v9, v5
	v_mov_b32_e32 v8, v4
	v_add_f32_e32 v13, v14, v24
	v_add_f32_e32 v12, v19, v12
	v_mov_b32_e32 v15, v11
	v_mov_b32_e32 v14, v10
	v_fmac_f32_e32 v11, 0x3f5db3d7, v17
	v_fmac_f32_e32 v10, 0xbf5db3d7, v18
	;; [unrolled: 1-line block ×6, first 2 shown]
	global_store_dwordx2 v[0:1], v[12:13], off
	v_fmac_f32_e32 v15, 0xbf5db3d7, v17
	v_fmac_f32_e32 v14, 0x3f5db3d7, v18
	global_store_dwordx2 v[0:1], v[10:11], off offset:1584
	global_store_dwordx2 v[0:1], v[14:15], off offset:3168
	;; [unrolled: 1-line block ×5, first 2 shown]
.LBB0_15:
	s_endpgm
	.section	.rodata,"a",@progbits
	.p2align	6, 0x0
	.amdhsa_kernel fft_rtc_back_len594_factors_11_3_6_3_wgs_99_tpt_99_sp_ip_CI_unitstride_sbrr_dirReg
		.amdhsa_group_segment_fixed_size 0
		.amdhsa_private_segment_fixed_size 0
		.amdhsa_kernarg_size 88
		.amdhsa_user_sgpr_count 6
		.amdhsa_user_sgpr_private_segment_buffer 1
		.amdhsa_user_sgpr_dispatch_ptr 0
		.amdhsa_user_sgpr_queue_ptr 0
		.amdhsa_user_sgpr_kernarg_segment_ptr 1
		.amdhsa_user_sgpr_dispatch_id 0
		.amdhsa_user_sgpr_flat_scratch_init 0
		.amdhsa_user_sgpr_private_segment_size 0
		.amdhsa_uses_dynamic_stack 0
		.amdhsa_system_sgpr_private_segment_wavefront_offset 0
		.amdhsa_system_sgpr_workgroup_id_x 1
		.amdhsa_system_sgpr_workgroup_id_y 0
		.amdhsa_system_sgpr_workgroup_id_z 0
		.amdhsa_system_sgpr_workgroup_info 0
		.amdhsa_system_vgpr_workitem_id 0
		.amdhsa_next_free_vgpr 83
		.amdhsa_next_free_sgpr 22
		.amdhsa_reserve_vcc 1
		.amdhsa_reserve_flat_scratch 0
		.amdhsa_float_round_mode_32 0
		.amdhsa_float_round_mode_16_64 0
		.amdhsa_float_denorm_mode_32 3
		.amdhsa_float_denorm_mode_16_64 3
		.amdhsa_dx10_clamp 1
		.amdhsa_ieee_mode 1
		.amdhsa_fp16_overflow 0
		.amdhsa_exception_fp_ieee_invalid_op 0
		.amdhsa_exception_fp_denorm_src 0
		.amdhsa_exception_fp_ieee_div_zero 0
		.amdhsa_exception_fp_ieee_overflow 0
		.amdhsa_exception_fp_ieee_underflow 0
		.amdhsa_exception_fp_ieee_inexact 0
		.amdhsa_exception_int_div_zero 0
	.end_amdhsa_kernel
	.text
.Lfunc_end0:
	.size	fft_rtc_back_len594_factors_11_3_6_3_wgs_99_tpt_99_sp_ip_CI_unitstride_sbrr_dirReg, .Lfunc_end0-fft_rtc_back_len594_factors_11_3_6_3_wgs_99_tpt_99_sp_ip_CI_unitstride_sbrr_dirReg
                                        ; -- End function
	.section	.AMDGPU.csdata,"",@progbits
; Kernel info:
; codeLenInByte = 4868
; NumSgprs: 26
; NumVgprs: 83
; ScratchSize: 0
; MemoryBound: 0
; FloatMode: 240
; IeeeMode: 1
; LDSByteSize: 0 bytes/workgroup (compile time only)
; SGPRBlocks: 3
; VGPRBlocks: 20
; NumSGPRsForWavesPerEU: 26
; NumVGPRsForWavesPerEU: 83
; Occupancy: 3
; WaveLimiterHint : 1
; COMPUTE_PGM_RSRC2:SCRATCH_EN: 0
; COMPUTE_PGM_RSRC2:USER_SGPR: 6
; COMPUTE_PGM_RSRC2:TRAP_HANDLER: 0
; COMPUTE_PGM_RSRC2:TGID_X_EN: 1
; COMPUTE_PGM_RSRC2:TGID_Y_EN: 0
; COMPUTE_PGM_RSRC2:TGID_Z_EN: 0
; COMPUTE_PGM_RSRC2:TIDIG_COMP_CNT: 0
	.type	__hip_cuid_7ba4b18a49234e49,@object ; @__hip_cuid_7ba4b18a49234e49
	.section	.bss,"aw",@nobits
	.globl	__hip_cuid_7ba4b18a49234e49
__hip_cuid_7ba4b18a49234e49:
	.byte	0                               ; 0x0
	.size	__hip_cuid_7ba4b18a49234e49, 1

	.ident	"AMD clang version 19.0.0git (https://github.com/RadeonOpenCompute/llvm-project roc-6.4.0 25133 c7fe45cf4b819c5991fe208aaa96edf142730f1d)"
	.section	".note.GNU-stack","",@progbits
	.addrsig
	.addrsig_sym __hip_cuid_7ba4b18a49234e49
	.amdgpu_metadata
---
amdhsa.kernels:
  - .args:
      - .actual_access:  read_only
        .address_space:  global
        .offset:         0
        .size:           8
        .value_kind:     global_buffer
      - .offset:         8
        .size:           8
        .value_kind:     by_value
      - .actual_access:  read_only
        .address_space:  global
        .offset:         16
        .size:           8
        .value_kind:     global_buffer
      - .actual_access:  read_only
        .address_space:  global
        .offset:         24
        .size:           8
        .value_kind:     global_buffer
      - .offset:         32
        .size:           8
        .value_kind:     by_value
      - .actual_access:  read_only
        .address_space:  global
        .offset:         40
        .size:           8
        .value_kind:     global_buffer
      - .actual_access:  read_only
        .address_space:  global
        .offset:         48
        .size:           8
        .value_kind:     global_buffer
      - .offset:         56
        .size:           4
        .value_kind:     by_value
      - .actual_access:  read_only
        .address_space:  global
        .offset:         64
        .size:           8
        .value_kind:     global_buffer
      - .actual_access:  read_only
        .address_space:  global
        .offset:         72
        .size:           8
        .value_kind:     global_buffer
      - .address_space:  global
        .offset:         80
        .size:           8
        .value_kind:     global_buffer
    .group_segment_fixed_size: 0
    .kernarg_segment_align: 8
    .kernarg_segment_size: 88
    .language:       OpenCL C
    .language_version:
      - 2
      - 0
    .max_flat_workgroup_size: 99
    .name:           fft_rtc_back_len594_factors_11_3_6_3_wgs_99_tpt_99_sp_ip_CI_unitstride_sbrr_dirReg
    .private_segment_fixed_size: 0
    .sgpr_count:     26
    .sgpr_spill_count: 0
    .symbol:         fft_rtc_back_len594_factors_11_3_6_3_wgs_99_tpt_99_sp_ip_CI_unitstride_sbrr_dirReg.kd
    .uniform_work_group_size: 1
    .uses_dynamic_stack: false
    .vgpr_count:     83
    .vgpr_spill_count: 0
    .wavefront_size: 64
amdhsa.target:   amdgcn-amd-amdhsa--gfx906
amdhsa.version:
  - 1
  - 2
...

	.end_amdgpu_metadata
